;; amdgpu-corpus repo=ROCm/rocFFT kind=compiled arch=gfx1030 opt=O3
	.text
	.amdgcn_target "amdgcn-amd-amdhsa--gfx1030"
	.amdhsa_code_object_version 6
	.protected	fft_rtc_back_len72_factors_8_3_3_wgs_384_tpt_24_half_op_CI_CI_sbcc_twdbase8_2step_dirReg ; -- Begin function fft_rtc_back_len72_factors_8_3_3_wgs_384_tpt_24_half_op_CI_CI_sbcc_twdbase8_2step_dirReg
	.globl	fft_rtc_back_len72_factors_8_3_3_wgs_384_tpt_24_half_op_CI_CI_sbcc_twdbase8_2step_dirReg
	.p2align	8
	.type	fft_rtc_back_len72_factors_8_3_3_wgs_384_tpt_24_half_op_CI_CI_sbcc_twdbase8_2step_dirReg,@function
fft_rtc_back_len72_factors_8_3_3_wgs_384_tpt_24_half_op_CI_CI_sbcc_twdbase8_2step_dirReg: ; @fft_rtc_back_len72_factors_8_3_3_wgs_384_tpt_24_half_op_CI_CI_sbcc_twdbase8_2step_dirReg
; %bb.0:
	s_clause 0x1
	s_load_dwordx4 s[0:3], s[4:5], 0x18
	s_load_dwordx2 s[30:31], s[4:5], 0x28
	s_mov_b32 s7, 0
	s_mov_b64 s[24:25], 0
	s_waitcnt lgkmcnt(0)
	s_load_dwordx2 s[28:29], s[0:1], 0x8
	s_waitcnt lgkmcnt(0)
	s_add_u32 s8, s28, -1
	s_addc_u32 s9, s29, -1
	s_lshr_b64 s[8:9], s[8:9], 4
	s_add_u32 s34, s8, 1
	s_addc_u32 s35, s9, 0
	v_cmp_lt_u64_e64 s8, s[6:7], s[34:35]
	s_and_b32 vcc_lo, exec_lo, s8
	s_cbranch_vccnz .LBB0_2
; %bb.1:
	v_cvt_f32_u32_e32 v1, s34
	s_sub_i32 s9, 0, s34
	s_mov_b32 s25, s7
	v_rcp_iflag_f32_e32 v1, v1
	v_mul_f32_e32 v1, 0x4f7ffffe, v1
	v_cvt_u32_f32_e32 v1, v1
	v_readfirstlane_b32 s8, v1
	s_mul_i32 s9, s9, s8
	s_mul_hi_u32 s9, s8, s9
	s_add_i32 s8, s8, s9
	s_mul_hi_u32 s8, s6, s8
	s_mul_i32 s9, s8, s34
	s_add_i32 s10, s8, 1
	s_sub_i32 s9, s6, s9
	s_sub_i32 s11, s9, s34
	s_cmp_ge_u32 s9, s34
	s_cselect_b32 s8, s10, s8
	s_cselect_b32 s9, s11, s9
	s_add_i32 s10, s8, 1
	s_cmp_ge_u32 s9, s34
	s_cselect_b32 s24, s10, s8
.LBB0_2:
	s_load_dwordx4 s[20:23], s[2:3], 0x0
	s_load_dwordx4 s[8:11], s[30:31], 0x0
	s_load_dwordx4 s[16:19], s[4:5], 0x8
	s_mul_i32 s12, s24, s35
	s_mul_hi_u32 s13, s24, s34
	s_mul_i32 s14, s24, s34
	s_add_i32 s13, s13, s12
	s_sub_u32 s36, s6, s14
	s_subb_u32 s37, 0, s13
	s_clause 0x1
	s_load_dwordx2 s[26:27], s[4:5], 0x0
	s_load_dwordx4 s[12:15], s[4:5], 0x60
	v_alignbit_b32 v1, s37, s36, 28
	s_lshl_b64 s[4:5], s[36:37], 4
	s_waitcnt lgkmcnt(0)
	v_mul_lo_u32 v2, s22, v1
	v_mul_lo_u32 v1, s10, v1
	s_mul_hi_u32 s33, s22, s4
	s_mul_hi_u32 s38, s10, s4
	v_cmp_lt_u64_e64 s40, s[18:19], 3
	s_mul_i32 s36, s23, s4
	s_mul_i32 s37, s22, s4
	;; [unrolled: 1-line block ×3, first 2 shown]
	v_add_nc_u32_e32 v2, s33, v2
	v_add_nc_u32_e32 v5, s38, v1
	s_mul_i32 s33, s10, s4
	v_mov_b32_e32 v3, s37
	v_mov_b32_e32 v1, s33
	v_add_nc_u32_e32 v4, s36, v2
	v_add_nc_u32_e32 v2, s39, v5
	s_and_b32 vcc_lo, exec_lo, s40
	s_cbranch_vccnz .LBB0_11
; %bb.3:
	s_add_u32 s36, s30, 16
	s_addc_u32 s37, s31, 0
	s_add_u32 s38, s2, 16
	s_addc_u32 s39, s3, 0
	;; [unrolled: 2-line block ×3, first 2 shown]
	s_mov_b64 s[40:41], 2
	s_mov_b32 s42, 0
	s_branch .LBB0_5
.LBB0_4:                                ;   in Loop: Header=BB0_5 Depth=1
	s_load_dwordx2 s[48:49], s[38:39], 0x0
	s_load_dwordx2 s[50:51], s[36:37], 0x0
	s_mul_i32 s33, s44, s35
	s_mul_hi_u32 s35, s44, s34
	s_mul_i32 s43, s45, s34
	s_mul_i32 s45, s46, s45
	s_mul_hi_u32 s52, s46, s44
	s_mul_i32 s53, s47, s44
	s_add_i32 s33, s35, s33
	s_add_i32 s45, s52, s45
	s_mul_i32 s54, s46, s44
	s_add_i32 s35, s33, s43
	s_add_i32 s45, s45, s53
	s_sub_u32 s24, s24, s54
	s_subb_u32 s25, s25, s45
	s_mul_i32 s34, s44, s34
	s_waitcnt lgkmcnt(0)
	s_mul_i32 s33, s48, s25
	s_mul_hi_u32 s43, s48, s24
	s_mul_i32 s45, s48, s24
	s_mul_i32 s25, s50, s25
	s_mul_hi_u32 s48, s50, s24
	s_mul_i32 s44, s49, s24
	s_add_i32 s33, s43, s33
	s_add_i32 s25, s48, s25
	s_mul_i32 s43, s51, s24
	s_add_i32 s33, s33, s44
	s_add_i32 s25, s25, s43
	v_add_co_u32 v3, vcc_lo, s45, v3
	s_add_u32 s40, s40, 1
	s_mul_i32 s24, s50, s24
	s_addc_u32 s41, s41, 0
	v_add_co_ci_u32_e32 v4, vcc_lo, s33, v4, vcc_lo
	v_add_co_u32 v1, vcc_lo, s24, v1
	v_cmp_ge_u64_e64 s24, s[40:41], s[18:19]
	s_add_u32 s36, s36, 8
	s_addc_u32 s37, s37, 0
	v_add_co_ci_u32_e32 v2, vcc_lo, s25, v2, vcc_lo
	s_add_u32 s38, s38, 8
	s_addc_u32 s39, s39, 0
	s_add_u32 s0, s0, 8
	s_addc_u32 s1, s1, 0
	s_and_b32 vcc_lo, exec_lo, s24
	s_mov_b64 s[24:25], s[46:47]
	s_cbranch_vccnz .LBB0_9
.LBB0_5:                                ; =>This Inner Loop Header: Depth=1
	s_load_dwordx2 s[44:45], s[0:1], 0x0
	s_mov_b32 s33, -1
	s_waitcnt lgkmcnt(0)
	s_or_b64 s[46:47], s[24:25], s[44:45]
	s_mov_b32 s43, s47
                                        ; implicit-def: $sgpr46_sgpr47
	s_cmp_lg_u64 s[42:43], 0
	s_cbranch_scc0 .LBB0_7
; %bb.6:                                ;   in Loop: Header=BB0_5 Depth=1
	v_cvt_f32_u32_e32 v5, s44
	v_cvt_f32_u32_e32 v6, s45
	s_sub_u32 s46, 0, s44
	s_subb_u32 s47, 0, s45
	v_fmac_f32_e32 v5, 0x4f800000, v6
	v_rcp_f32_e32 v5, v5
	v_mul_f32_e32 v5, 0x5f7ffffc, v5
	v_mul_f32_e32 v6, 0x2f800000, v5
	v_trunc_f32_e32 v6, v6
	v_fmac_f32_e32 v5, 0xcf800000, v6
	v_cvt_u32_f32_e32 v6, v6
	v_cvt_u32_f32_e32 v5, v5
	v_readfirstlane_b32 s33, v6
	v_readfirstlane_b32 s43, v5
	s_mul_i32 s48, s46, s33
	s_mul_hi_u32 s50, s46, s43
	s_mul_i32 s49, s47, s43
	s_add_i32 s48, s50, s48
	s_mul_i32 s51, s46, s43
	s_add_i32 s48, s48, s49
	s_mul_hi_u32 s50, s43, s51
	s_mul_hi_u32 s52, s33, s51
	s_mul_i32 s49, s33, s51
	s_mul_hi_u32 s51, s43, s48
	s_mul_i32 s43, s43, s48
	s_mul_hi_u32 s53, s33, s48
	s_add_u32 s43, s50, s43
	s_addc_u32 s50, 0, s51
	s_add_u32 s43, s43, s49
	s_mul_i32 s48, s33, s48
	s_addc_u32 s43, s50, s52
	s_addc_u32 s49, s53, 0
	s_add_u32 s43, s43, s48
	s_addc_u32 s48, 0, s49
	v_add_co_u32 v5, s43, v5, s43
	s_cmp_lg_u32 s43, 0
	s_addc_u32 s33, s33, s48
	v_readfirstlane_b32 s43, v5
	s_mul_i32 s48, s46, s33
	s_mul_hi_u32 s49, s46, s43
	s_mul_i32 s47, s47, s43
	s_add_i32 s48, s49, s48
	s_mul_i32 s46, s46, s43
	s_add_i32 s48, s48, s47
	s_mul_hi_u32 s49, s33, s46
	s_mul_i32 s50, s33, s46
	s_mul_hi_u32 s46, s43, s46
	s_mul_hi_u32 s51, s43, s48
	s_mul_i32 s43, s43, s48
	s_mul_hi_u32 s47, s33, s48
	s_add_u32 s43, s46, s43
	s_addc_u32 s46, 0, s51
	s_add_u32 s43, s43, s50
	s_mul_i32 s48, s33, s48
	s_addc_u32 s43, s46, s49
	s_addc_u32 s46, s47, 0
	s_add_u32 s43, s43, s48
	s_addc_u32 s46, 0, s46
	v_add_co_u32 v5, s43, v5, s43
	s_cmp_lg_u32 s43, 0
	s_addc_u32 s33, s33, s46
	v_readfirstlane_b32 s43, v5
	s_mul_i32 s47, s24, s33
	s_mul_hi_u32 s46, s24, s33
	s_mul_hi_u32 s48, s25, s33
	s_mul_i32 s33, s25, s33
	s_mul_hi_u32 s49, s24, s43
	s_mul_hi_u32 s50, s25, s43
	s_mul_i32 s43, s25, s43
	s_add_u32 s47, s49, s47
	s_addc_u32 s46, 0, s46
	s_add_u32 s43, s47, s43
	s_addc_u32 s43, s46, s50
	s_addc_u32 s46, s48, 0
	s_add_u32 s43, s43, s33
	s_addc_u32 s46, 0, s46
	s_mul_hi_u32 s33, s44, s43
	s_mul_i32 s48, s44, s46
	s_mul_i32 s49, s44, s43
	s_add_i32 s33, s33, s48
	v_sub_co_u32 v5, s48, s24, s49
	s_mul_i32 s47, s45, s43
	s_add_i32 s33, s33, s47
	v_sub_co_u32 v6, s49, v5, s44
	s_sub_i32 s47, s25, s33
	s_cmp_lg_u32 s48, 0
	s_subb_u32 s47, s47, s45
	s_cmp_lg_u32 s49, 0
	v_readfirstlane_b32 s49, v6
	s_subb_u32 s47, s47, 0
	s_cmp_ge_u32 s47, s45
	s_cselect_b32 s50, -1, 0
	s_cmp_ge_u32 s49, s44
	s_cselect_b32 s49, -1, 0
	s_cmp_eq_u32 s47, s45
	s_cselect_b32 s47, s49, s50
	s_add_u32 s49, s43, 1
	s_addc_u32 s50, s46, 0
	s_add_u32 s51, s43, 2
	s_addc_u32 s52, s46, 0
	s_cmp_lg_u32 s47, 0
	s_cselect_b32 s49, s51, s49
	s_cselect_b32 s47, s52, s50
	s_cmp_lg_u32 s48, 0
	v_readfirstlane_b32 s48, v5
	s_subb_u32 s33, s25, s33
	s_cmp_ge_u32 s33, s45
	s_cselect_b32 s50, -1, 0
	s_cmp_ge_u32 s48, s44
	s_cselect_b32 s48, -1, 0
	s_cmp_eq_u32 s33, s45
	s_cselect_b32 s33, s48, s50
	s_cmp_lg_u32 s33, 0
	s_mov_b32 s33, 0
	s_cselect_b32 s47, s47, s46
	s_cselect_b32 s46, s49, s43
.LBB0_7:                                ;   in Loop: Header=BB0_5 Depth=1
	s_andn2_b32 vcc_lo, exec_lo, s33
	s_cbranch_vccnz .LBB0_4
; %bb.8:                                ;   in Loop: Header=BB0_5 Depth=1
	v_cvt_f32_u32_e32 v5, s44
	s_sub_i32 s43, 0, s44
	v_rcp_iflag_f32_e32 v5, v5
	v_mul_f32_e32 v5, 0x4f7ffffe, v5
	v_cvt_u32_f32_e32 v5, v5
	v_readfirstlane_b32 s33, v5
	s_mul_i32 s43, s43, s33
	s_mul_hi_u32 s43, s33, s43
	s_add_i32 s33, s33, s43
	s_mul_hi_u32 s33, s24, s33
	s_mul_i32 s43, s33, s44
	s_add_i32 s46, s33, 1
	s_sub_i32 s43, s24, s43
	s_sub_i32 s47, s43, s44
	s_cmp_ge_u32 s43, s44
	s_cselect_b32 s33, s46, s33
	s_cselect_b32 s43, s47, s43
	s_add_i32 s46, s33, 1
	s_cmp_ge_u32 s43, s44
	s_mov_b32 s47, s42
	s_cselect_b32 s46, s46, s33
	s_branch .LBB0_4
.LBB0_9:
	v_cmp_lt_u64_e64 s0, s[6:7], s[34:35]
	s_mov_b64 s[24:25], 0
	s_and_b32 vcc_lo, exec_lo, s0
	s_cbranch_vccnz .LBB0_11
; %bb.10:
	v_cvt_f32_u32_e32 v5, s34
	s_sub_i32 s1, 0, s34
	v_rcp_iflag_f32_e32 v5, v5
	v_mul_f32_e32 v5, 0x4f7ffffe, v5
	v_cvt_u32_f32_e32 v5, v5
	v_readfirstlane_b32 s0, v5
	s_mul_i32 s1, s1, s0
	s_mul_hi_u32 s1, s0, s1
	s_add_i32 s0, s0, s1
	s_mul_hi_u32 s0, s6, s0
	s_mul_i32 s1, s0, s34
	s_sub_i32 s1, s6, s1
	s_add_i32 s6, s0, 1
	s_sub_i32 s7, s1, s34
	s_cmp_ge_u32 s1, s34
	s_cselect_b32 s0, s6, s0
	s_cselect_b32 s1, s7, s1
	s_add_i32 s6, s0, 1
	s_cmp_ge_u32 s1, s34
	s_cselect_b32 s24, s6, s0
.LBB0_11:
	s_lshl_b64 s[0:1], s[18:19], 3
	v_lshrrev_b32_e32 v8, 4, v0
	s_add_u32 s2, s2, s0
	s_addc_u32 s3, s3, s1
	v_cmp_gt_u32_e32 vcc_lo, 0x90, v0
	s_load_dwordx2 s[2:3], s[2:3], 0x0
	v_and_b32_e32 v7, 15, v0
	v_add_nc_u32_e32 v14, 9, v8
	v_add_nc_u32_e32 v15, 18, v8
	v_add_nc_u32_e32 v13, 27, v8
	v_add_nc_u32_e32 v12, 36, v8
	v_add_nc_u32_e32 v11, 45, v8
	v_add_nc_u32_e32 v10, 54, v8
	v_add_nc_u32_e32 v9, 63, v8
                                        ; implicit-def: $vgpr16
                                        ; implicit-def: $vgpr20
                                        ; implicit-def: $vgpr18
                                        ; implicit-def: $vgpr22
                                        ; implicit-def: $vgpr17
                                        ; implicit-def: $vgpr21
                                        ; implicit-def: $vgpr19
                                        ; implicit-def: $vgpr23
	s_waitcnt lgkmcnt(0)
	s_mul_i32 s3, s3, s24
	s_mul_hi_u32 s6, s2, s24
	s_mul_i32 s7, s2, s24
	s_add_i32 s6, s6, s3
	s_add_u32 s2, s30, s0
	v_add_co_u32 v3, s0, s7, v3
	v_add_co_ci_u32_e64 v4, s0, s6, v4, s0
	s_addc_u32 s3, s31, s1
	s_add_u32 s0, s4, 16
	s_addc_u32 s1, s5, 0
	v_lshlrev_b64 v[5:6], 2, v[3:4]
	v_cmp_le_u64_e64 s6, s[0:1], s[28:29]
	s_and_b32 s0, vcc_lo, s6
	s_and_saveexec_b32 s1, s0
	s_cbranch_execz .LBB0_13
; %bb.12:
	v_mad_u64_u32 v[3:4], null, s22, v7, 0
	v_mad_u64_u32 v[16:17], null, s20, v8, 0
	;; [unrolled: 1-line block ×3, first 2 shown]
	v_add_co_u32 v28, s0, s12, v5
	v_mad_u64_u32 v[20:21], null, s23, v7, v[4:5]
	v_mad_u64_u32 v[21:22], null, s20, v15, 0
	;; [unrolled: 1-line block ×3, first 2 shown]
	v_add_co_ci_u32_e64 v29, s0, s13, v6, s0
	v_mov_b32_e32 v4, v20
	v_mad_u64_u32 v[24:25], null, s20, v13, 0
	v_mov_b32_e32 v20, v22
	v_mov_b32_e32 v17, v23
	v_lshlrev_b64 v[3:4], 2, v[3:4]
	v_mad_u64_u32 v[22:23], null, s21, v14, v[19:20]
	v_lshlrev_b64 v[16:17], 2, v[16:17]
	v_add_co_u32 v35, s0, v28, v3
	v_mad_u64_u32 v[26:27], null, s21, v15, v[20:21]
	v_add_co_ci_u32_e64 v36, s0, v29, v4, s0
	v_mov_b32_e32 v19, v22
	v_add_co_u32 v3, s0, v35, v16
	v_add_co_ci_u32_e64 v4, s0, v36, v17, s0
	v_lshlrev_b64 v[16:17], 2, v[18:19]
	v_mad_u64_u32 v[19:20], null, s20, v12, 0
	v_mov_b32_e32 v18, v25
	v_mov_b32_e32 v22, v26
	v_add_co_u32 v28, s0, v35, v16
	v_add_co_ci_u32_e64 v29, s0, v36, v17, s0
	v_mad_u64_u32 v[25:26], null, s21, v13, v[18:19]
	v_lshlrev_b64 v[17:18], 2, v[21:22]
	v_mov_b32_e32 v16, v20
	v_mad_u64_u32 v[26:27], null, s20, v11, 0
	v_mad_u64_u32 v[21:22], null, s21, v12, v[16:17]
	v_mad_u64_u32 v[22:23], null, s20, v10, 0
	v_mov_b32_e32 v20, v27
	v_add_co_u32 v33, s0, v35, v17
	v_add_co_ci_u32_e64 v34, s0, v36, v18, s0
	v_lshlrev_b64 v[17:18], 2, v[24:25]
	v_mad_u64_u32 v[30:31], null, s21, v11, v[20:21]
	v_mov_b32_e32 v16, v23
	v_mad_u64_u32 v[31:32], null, s20, v9, 0
	v_mov_b32_e32 v20, v21
	v_mad_u64_u32 v[23:24], null, s21, v10, v[16:17]
	v_add_co_u32 v24, s0, v35, v17
	v_add_co_ci_u32_e64 v25, s0, v36, v18, s0
	v_lshlrev_b64 v[17:18], 2, v[19:20]
	v_mov_b32_e32 v16, v32
	v_mov_b32_e32 v27, v30
	v_mad_u64_u32 v[19:20], null, s21, v9, v[16:17]
	v_lshlrev_b64 v[20:21], 2, v[26:27]
	v_add_co_u32 v26, s0, v35, v17
	v_lshlrev_b64 v[16:17], 2, v[22:23]
	v_add_co_ci_u32_e64 v27, s0, v36, v18, s0
	v_mov_b32_e32 v32, v19
	v_add_co_u32 v22, s0, v35, v20
	v_add_co_ci_u32_e64 v23, s0, v36, v21, s0
	v_lshlrev_b64 v[18:19], 2, v[31:32]
	v_add_co_u32 v30, s0, v35, v16
	v_add_co_ci_u32_e64 v31, s0, v36, v17, s0
	v_add_co_u32 v35, s0, v35, v18
	v_add_co_ci_u32_e64 v36, s0, v36, v19, s0
	s_clause 0x7
	global_load_dword v16, v[3:4], off
	global_load_dword v17, v[28:29], off
	;; [unrolled: 1-line block ×8, first 2 shown]
.LBB0_13:
	s_or_b32 exec_lo, exec_lo, s1
	v_mov_b32_e32 v4, s5
	v_or_b32_e32 v3, s4, v7
	s_xor_b32 s1, s6, -1
	v_cmp_gt_u64_e64 s0, s[28:29], v[3:4]
	s_and_b32 s4, vcc_lo, s0
	s_and_b32 s1, s1, s4
	s_and_saveexec_b32 s4, s1
	s_cbranch_execz .LBB0_15
; %bb.14:
	s_waitcnt vmcnt(6)
	v_mad_u64_u32 v[16:17], null, s22, v7, 0
	s_waitcnt vmcnt(4)
	v_mad_u64_u32 v[18:19], null, s20, v8, 0
	;; [unrolled: 2-line block ×3, first 2 shown]
	v_mov_b32_e32 v4, v17
	v_mov_b32_e32 v17, v19
	s_waitcnt vmcnt(0)
	v_mad_u64_u32 v[22:23], null, s23, v7, v[4:5]
	v_mad_u64_u32 v[23:24], null, s20, v15, 0
	;; [unrolled: 1-line block ×3, first 2 shown]
	v_add_co_u32 v26, s1, s12, v5
	v_add_co_ci_u32_e64 v27, s1, s13, v6, s1
	v_mov_b32_e32 v17, v22
	v_mov_b32_e32 v6, v21
	;; [unrolled: 1-line block ×4, first 2 shown]
	v_mad_u64_u32 v[4:5], null, s20, v13, 0
	v_lshlrev_b64 v[16:17], 2, v[16:17]
	v_mad_u64_u32 v[24:25], null, s21, v14, v[6:7]
	v_lshlrev_b64 v[18:19], 2, v[18:19]
	v_mad_u64_u32 v[14:15], null, s21, v15, v[21:22]
	v_add_co_u32 v29, s1, v26, v16
	v_add_co_ci_u32_e64 v30, s1, v27, v17, s1
	v_mov_b32_e32 v21, v24
	v_add_co_u32 v15, s1, v29, v18
	v_add_co_ci_u32_e64 v16, s1, v30, v19, s1
	v_lshlrev_b64 v[17:18], 2, v[20:21]
	v_mad_u64_u32 v[19:20], null, s20, v12, 0
	v_mad_u64_u32 v[5:6], null, s21, v13, v[5:6]
	v_mov_b32_e32 v24, v14
	v_mad_u64_u32 v[13:14], null, s20, v11, 0
	v_mad_u64_u32 v[25:26], null, s20, v9, 0
	v_mov_b32_e32 v6, v20
	v_lshlrev_b64 v[20:21], 2, v[23:24]
	v_add_co_u32 v17, s1, v29, v17
	v_add_co_ci_u32_e64 v18, s1, v30, v18, s1
	v_mad_u64_u32 v[22:23], null, s21, v12, v[6:7]
	v_mad_u64_u32 v[23:24], null, s20, v10, 0
	;; [unrolled: 1-line block ×3, first 2 shown]
	v_add_co_u32 v27, s1, v29, v20
	v_mov_b32_e32 v20, v22
	v_lshlrev_b64 v[4:5], 2, v[4:5]
	v_mov_b32_e32 v6, v24
	v_add_co_ci_u32_e64 v28, s1, v30, v21, s1
	v_mov_b32_e32 v14, v11
	v_mad_u64_u32 v[10:11], null, s21, v10, v[6:7]
	v_mov_b32_e32 v6, v26
	v_lshlrev_b64 v[11:12], 2, v[19:20]
	v_add_co_u32 v4, s1, v29, v4
	v_add_co_ci_u32_e64 v5, s1, v30, v5, s1
	v_mad_u64_u32 v[19:20], null, s21, v9, v[6:7]
	v_mov_b32_e32 v24, v10
	v_lshlrev_b64 v[13:14], 2, v[13:14]
	v_add_co_u32 v9, s1, v29, v11
	v_add_co_ci_u32_e64 v10, s1, v30, v12, s1
	v_mov_b32_e32 v26, v19
	v_lshlrev_b64 v[11:12], 2, v[23:24]
	v_add_co_u32 v13, s1, v29, v13
	v_add_co_ci_u32_e64 v14, s1, v30, v14, s1
	v_lshlrev_b64 v[19:20], 2, v[25:26]
	v_add_co_u32 v11, s1, v29, v11
	v_add_co_ci_u32_e64 v12, s1, v30, v12, s1
	v_add_co_u32 v23, s1, v29, v19
	v_add_co_ci_u32_e64 v24, s1, v30, v20, s1
	s_clause 0x7
	global_load_dword v16, v[15:16], off
	global_load_dword v17, v[17:18], off
	;; [unrolled: 1-line block ×8, first 2 shown]
.LBB0_15:
	s_or_b32 exec_lo, exec_lo, s4
	v_lshlrev_b32_e32 v5, 2, v7
	s_and_saveexec_b32 s1, vcc_lo
	s_cbranch_execz .LBB0_17
; %bb.16:
	s_waitcnt vmcnt(3)
	v_pk_add_f16 v4, v16, v20 neg_lo:[0,1] neg_hi:[0,1]
	s_waitcnt vmcnt(1)
	v_pk_add_f16 v6, v18, v22 neg_lo:[0,1] neg_hi:[0,1]
	v_pk_add_f16 v9, v17, v21 neg_lo:[0,1] neg_hi:[0,1]
	s_waitcnt vmcnt(0)
	v_pk_add_f16 v10, v19, v23 neg_lo:[0,1] neg_hi:[0,1]
	v_pk_fma_f16 v15, v16, 2.0, v4 op_sel_hi:[1,0,1] neg_lo:[0,0,1] neg_hi:[0,0,1]
	v_pk_add_f16 v11, v4, v6 op_sel:[0,1] op_sel_hi:[1,0]
	v_pk_add_f16 v12, v4, v6 op_sel:[0,1] op_sel_hi:[1,0] neg_lo:[0,1] neg_hi:[0,1]
	v_pk_add_f16 v13, v9, v10 op_sel:[0,1] op_sel_hi:[1,0]
	v_pk_add_f16 v14, v9, v10 op_sel:[0,1] op_sel_hi:[1,0] neg_lo:[0,1] neg_hi:[0,1]
	v_pk_fma_f16 v6, v18, 2.0, v6 op_sel_hi:[1,0,1] neg_lo:[0,0,1] neg_hi:[0,0,1]
	v_pk_fma_f16 v16, v17, 2.0, v9 op_sel_hi:[1,0,1] neg_lo:[0,0,1] neg_hi:[0,0,1]
	;; [unrolled: 1-line block ×3, first 2 shown]
	v_bfi_b32 v11, 0xffff, v11, v12
	v_bfi_b32 v13, 0xffff, v13, v14
	v_pk_add_f16 v6, v15, v6 neg_lo:[0,1] neg_hi:[0,1]
	v_pk_add_f16 v10, v16, v10 neg_lo:[0,1] neg_hi:[0,1]
	v_pk_fma_f16 v4, v4, 2.0, v11 op_sel_hi:[1,0,1] neg_lo:[0,0,1] neg_hi:[0,0,1]
	v_pk_fma_f16 v9, v9, 2.0, v13 op_sel_hi:[1,0,1] neg_lo:[0,0,1] neg_hi:[0,0,1]
	;; [unrolled: 1-line block ×4, first 2 shown]
	v_pk_mul_f16 v16, 0x39a8, v13 op_sel_hi:[0,1]
	v_pk_mul_f16 v15, 0x39a8, v9 op_sel_hi:[0,1]
	v_pk_fma_f16 v9, 0x39a8, v9, v4 op_sel_hi:[0,1,1] neg_lo:[0,1,0] neg_hi:[0,1,0]
	v_pk_fma_f16 v13, 0x39a8, v13, v11 op_sel_hi:[0,1,1]
	v_pk_add_f16 v14, v12, v14 neg_lo:[0,1] neg_hi:[0,1]
	v_pk_add_f16 v19, v6, v10 op_sel:[0,1] op_sel_hi:[1,0]
	v_pk_add_f16 v10, v6, v10 op_sel:[0,1] op_sel_hi:[1,0] neg_lo:[0,1] neg_hi:[0,1]
	v_pk_add_f16 v17, v9, v15 op_sel:[0,1] op_sel_hi:[1,0]
	v_pk_add_f16 v9, v9, v15 op_sel:[0,1] op_sel_hi:[1,0] neg_lo:[0,1] neg_hi:[0,1]
	v_lshrrev_b32_e32 v15, 16, v12
	v_lshrrev_b32_e32 v18, 16, v14
	v_pk_add_f16 v20, v13, v16 op_sel:[0,1] op_sel_hi:[1,0]
	v_pk_add_f16 v13, v13, v16 op_sel:[0,1] op_sel_hi:[1,0] neg_lo:[0,1] neg_hi:[0,1]
	v_lshlrev_b32_e32 v16, 9, v8
	v_bfi_b32 v10, 0xffff, v19, v10
	v_fma_f16 v15, v15, 2.0, -v18
	v_bfi_b32 v9, 0xffff, v17, v9
	v_bfi_b32 v13, 0xffff, v20, v13
	v_fma_f16 v12, v12, 2.0, -v14
	v_add3_u32 v16, 0, v16, v5
	v_lshlrev_b32_e32 v15, 16, v15
	v_pk_fma_f16 v6, v6, 2.0, v10 op_sel_hi:[1,0,1] neg_lo:[0,0,1] neg_hi:[0,0,1]
	v_pk_fma_f16 v11, v11, 2.0, v13 op_sel_hi:[1,0,1] neg_lo:[0,0,1] neg_hi:[0,0,1]
	;; [unrolled: 1-line block ×3, first 2 shown]
	v_or_b32_sdwa v12, v15, v12 dst_sel:DWORD dst_unused:UNUSED_PAD src0_sel:DWORD src1_sel:WORD_0
	ds_write2_b32 v16, v6, v11 offset0:32 offset1:48
	ds_write2_b32 v16, v12, v4 offset1:16
	ds_write2_b32 v16, v14, v9 offset0:64 offset1:80
	ds_write2_b32 v16, v10, v13 offset0:96 offset1:112
.LBB0_17:
	s_or_b32 exec_lo, exec_lo, s1
	v_bfe_u32 v6, v0, 4, 3
	s_load_dwordx2 s[2:3], s[2:3], 0x0
	s_waitcnt vmcnt(0) lgkmcnt(0)
	s_barrier
	buffer_gl0_inv
	v_lshlrev_b32_e32 v4, 3, v6
	v_lshrrev_b32_e32 v14, 7, v0
	s_or_b32 s0, s6, s0
	global_load_dwordx2 v[9:10], v4, s[26:27]
	v_lshlrev_b32_e32 v4, 6, v8
	v_mul_u32_u24_e32 v14, 24, v14
	v_add3_u32 v4, 0, v4, v5
	v_or_b32_e32 v6, v14, v6
	ds_read2st64_b32 v[11:12], v4 offset1:6
	ds_read_b32 v13, v4 offset:3072
	v_lshlrev_b32_e32 v6, 6, v6
	s_waitcnt vmcnt(0) lgkmcnt(0)
	s_barrier
	buffer_gl0_inv
	v_add3_u32 v5, 0, v6, v5
	v_lshrrev_b32_e32 v15, 16, v12
	v_lshrrev_b32_e32 v16, 16, v13
	v_mul_f16_sdwa v17, v9, v15 dst_sel:DWORD dst_unused:UNUSED_PAD src0_sel:WORD_1 src1_sel:DWORD
	v_mul_f16_sdwa v18, v10, v16 dst_sel:DWORD dst_unused:UNUSED_PAD src0_sel:WORD_1 src1_sel:DWORD
	v_mul_f16_sdwa v19, v9, v12 dst_sel:DWORD dst_unused:UNUSED_PAD src0_sel:WORD_1 src1_sel:DWORD
	v_mul_f16_sdwa v20, v10, v13 dst_sel:DWORD dst_unused:UNUSED_PAD src0_sel:WORD_1 src1_sel:DWORD
	v_fmac_f16_e32 v17, v9, v12
	v_fmac_f16_e32 v18, v10, v13
	v_fma_f16 v9, v9, v15, -v19
	v_fma_f16 v10, v10, v16, -v20
	v_lshrrev_b32_e32 v12, 16, v11
	v_add_f16_e32 v14, v17, v11
	v_add_f16_e32 v13, v17, v18
	v_add_f16_e32 v15, v9, v10
	v_sub_f16_e32 v16, v9, v10
	v_add_f16_e32 v9, v9, v12
	v_fma_f16 v11, -0.5, v13, v11
	v_sub_f16_e32 v13, v17, v18
	v_fmac_f16_e32 v12, -0.5, v15
	v_add_f16_e32 v14, v14, v18
	v_add_f16_e32 v9, v9, v10
	v_fmamk_f16 v10, v16, 0xbaee, v11
	v_fmac_f16_e32 v11, 0x3aee, v16
	v_fmamk_f16 v15, v13, 0x3aee, v12
	v_fmac_f16_e32 v12, 0xbaee, v13
	v_pack_b32_f16 v6, v14, v9
	v_pack_b32_f16 v9, v10, v15
	;; [unrolled: 1-line block ×3, first 2 shown]
	ds_write2st64_b32 v5, v6, v9 offset1:2
	ds_write_b32 v5, v10 offset:1024
	s_waitcnt lgkmcnt(0)
	s_barrier
	buffer_gl0_inv
	s_and_saveexec_b32 s1, s0
	s_cbranch_execz .LBB0_19
; %bb.18:
	v_mul_lo_u16 v5, v8, 11
	v_mov_b32_e32 v11, 2
	v_mul_u32_u24_e32 v0, 0xab, v0
	s_mul_i32 s1, s3, s24
	s_mul_hi_u32 s3, s2, s24
	v_lshrrev_b16 v5, 8, v5
	s_mul_i32 s0, s2, s24
	v_lshrrev_b32_e32 v0, 16, v0
	s_add_i32 s1, s3, s1
	s_lshl_b64 s[0:1], s[0:1], 2
	v_mul_lo_u16 v5, v5, 24
	s_add_u32 s0, s14, s0
	s_addc_u32 s1, s15, s1
	v_sub_nc_u16 v5, v8, v5
	v_and_b32_e32 v12, 0xff, v5
	v_lshlrev_b32_e32 v5, 3, v12
	v_add_nc_u32_e32 v8, 48, v12
	v_add_nc_u32_e32 v9, 24, v12
	v_mul_lo_u32 v10, v3, v12
	global_load_dwordx2 v[5:6], v5, s[26:27] offset:64
	v_mul_lo_u32 v8, v3, v8
	v_mul_lo_u32 v3, v3, v9
	v_lshlrev_b32_sdwa v9, v11, v10 dst_sel:DWORD dst_unused:UNUSED_PAD src0_sel:DWORD src1_sel:BYTE_0
	v_lshlrev_b32_sdwa v10, v11, v10 dst_sel:DWORD dst_unused:UNUSED_PAD src0_sel:DWORD src1_sel:BYTE_1
	v_lshlrev_b32_sdwa v13, v11, v8 dst_sel:DWORD dst_unused:UNUSED_PAD src0_sel:DWORD src1_sel:BYTE_0
	v_lshlrev_b32_sdwa v8, v11, v8 dst_sel:DWORD dst_unused:UNUSED_PAD src0_sel:DWORD src1_sel:BYTE_1
	;; [unrolled: 2-line block ×3, first 2 shown]
	s_clause 0x5
	global_load_dword v19, v13, s[16:17]
	global_load_dword v20, v8, s[16:17] offset:1024
	global_load_dword v21, v14, s[16:17]
	global_load_dword v22, v3, s[16:17] offset:1024
	;; [unrolled: 2-line block ×3, first 2 shown]
	v_mad_u64_u32 v[8:9], null, s10, v7, 0
	v_mul_lo_u16 v3, 0x48, v0
	ds_read2st64_b32 v[10:11], v4 offset1:6
	ds_read_b32 v25, v4 offset:3072
	v_add_nc_u32_sdwa v18, v3, v12 dst_sel:DWORD dst_unused:UNUSED_PAD src0_sel:WORD_0 src1_sel:DWORD
	v_mov_b32_e32 v0, v9
	v_add_nc_u32_e32 v26, 48, v18
	v_mad_u64_u32 v[3:4], null, s11, v7, v[0:1]
	v_add_nc_u32_e32 v7, 24, v18
	v_mad_u64_u32 v[12:13], null, s8, v18, 0
	v_mad_u64_u32 v[16:17], null, s8, v26, 0
	;; [unrolled: 1-line block ×3, first 2 shown]
	v_lshlrev_b64 v[0:1], 2, v[1:2]
	v_mov_b32_e32 v9, v3
	v_mov_b32_e32 v2, v13
	;; [unrolled: 1-line block ×4, first 2 shown]
	v_mad_u64_u32 v[17:18], null, s9, v18, v[2:3]
	v_mad_u64_u32 v[2:3], null, s9, v7, v[3:4]
	s_waitcnt lgkmcnt(1)
	v_lshrrev_b32_e32 v18, 16, v10
	v_mov_b32_e32 v13, v17
	v_mov_b32_e32 v15, v2
	s_waitcnt vmcnt(6)
	v_mad_u64_u32 v[3:4], null, s9, v26, v[4:5]
	v_add_co_u32 v4, vcc_lo, s0, v0
	v_add_co_ci_u32_e32 v7, vcc_lo, s1, v1, vcc_lo
	v_lshlrev_b64 v[0:1], 2, v[8:9]
	v_lshrrev_b32_e32 v26, 16, v11
	s_waitcnt lgkmcnt(0)
	v_lshrrev_b32_e32 v9, 16, v25
	v_mov_b32_e32 v17, v3
	v_lshlrev_b64 v[2:3], 2, v[14:15]
	v_add_co_u32 v4, vcc_lo, v4, v0
	v_add_co_ci_u32_e32 v27, vcc_lo, v7, v1, vcc_lo
	v_lshlrev_b64 v[0:1], 2, v[12:13]
	v_mul_f16_sdwa v12, v5, v11 dst_sel:DWORD dst_unused:UNUSED_PAD src0_sel:WORD_1 src1_sel:DWORD
	v_mul_f16_sdwa v13, v6, v25 dst_sel:DWORD dst_unused:UNUSED_PAD src0_sel:WORD_1 src1_sel:DWORD
	;; [unrolled: 1-line block ×4, first 2 shown]
	v_lshlrev_b64 v[7:8], 2, v[16:17]
	v_fma_f16 v12, v5, v26, -v12
	v_fma_f16 v9, v6, v9, -v13
	v_fmac_f16_e32 v14, v5, v11
	v_fmac_f16_e32 v15, v6, v25
	s_waitcnt vmcnt(5)
	v_lshrrev_b32_e32 v16, 16, v19
	s_waitcnt vmcnt(3)
	v_lshrrev_b32_e32 v25, 16, v21
	v_add_f16_e32 v5, v12, v9
	v_sub_f16_e32 v11, v12, v9
	v_add_f16_e32 v13, v14, v15
	v_sub_f16_e32 v6, v14, v15
	v_add_f16_e32 v12, v12, v18
	v_add_f16_e32 v14, v14, v10
	s_waitcnt vmcnt(1)
	v_lshrrev_b32_e32 v28, 16, v23
	s_waitcnt vmcnt(0)
	v_mul_f16_sdwa v29, v23, v24 dst_sel:DWORD dst_unused:UNUSED_PAD src0_sel:DWORD src1_sel:WORD_1
	v_mul_f16_sdwa v17, v19, v20 dst_sel:DWORD dst_unused:UNUSED_PAD src0_sel:DWORD src1_sel:WORD_1
	;; [unrolled: 1-line block ×3, first 2 shown]
	v_fma_f16 v5, -0.5, v5, v18
	v_fma_f16 v10, -0.5, v13, v10
	v_add_f16_e32 v9, v12, v9
	v_add_f16_e32 v12, v14, v15
	v_mul_f16_sdwa v13, v16, v20 dst_sel:DWORD dst_unused:UNUSED_PAD src0_sel:DWORD src1_sel:WORD_1
	v_mul_f16_sdwa v14, v25, v22 dst_sel:DWORD dst_unused:UNUSED_PAD src0_sel:DWORD src1_sel:WORD_1
	;; [unrolled: 1-line block ×3, first 2 shown]
	v_fmac_f16_e32 v29, v28, v24
	v_fmac_f16_e32 v17, v16, v20
	v_fmac_f16_e32 v26, v25, v22
	v_fmamk_f16 v16, v6, 0xbaee, v5
	v_fmamk_f16 v18, v11, 0x3aee, v10
	v_fmac_f16_e32 v5, 0x3aee, v6
	v_fmac_f16_e32 v10, 0xbaee, v11
	v_fma_f16 v6, v19, v20, -v13
	v_fma_f16 v11, v21, v22, -v14
	;; [unrolled: 1-line block ×3, first 2 shown]
	v_mul_f16_e32 v14, v12, v29
	v_mul_f16_e32 v15, v9, v29
	;; [unrolled: 1-line block ×6, first 2 shown]
	v_add_co_u32 v0, vcc_lo, v4, v0
	v_fma_f16 v9, v9, v13, -v14
	v_fmac_f16_e32 v15, v12, v13
	v_add_co_ci_u32_e32 v1, vcc_lo, v27, v1, vcc_lo
	v_fma_f16 v12, v16, v6, -v19
	v_fmac_f16_e32 v17, v18, v6
	v_fma_f16 v6, v5, v11, -v20
	v_fmac_f16_e32 v21, v10, v11
	v_add_co_u32 v2, vcc_lo, v4, v2
	v_add_co_ci_u32_e32 v3, vcc_lo, v27, v3, vcc_lo
	v_add_co_u32 v4, vcc_lo, v4, v7
	v_pack_b32_f16 v7, v15, v9
	v_pack_b32_f16 v6, v21, v6
	v_add_co_ci_u32_e32 v5, vcc_lo, v27, v8, vcc_lo
	v_pack_b32_f16 v8, v17, v12
	global_store_dword v[0:1], v7, off
	global_store_dword v[2:3], v6, off
	;; [unrolled: 1-line block ×3, first 2 shown]
.LBB0_19:
	s_endpgm
	.section	.rodata,"a",@progbits
	.p2align	6, 0x0
	.amdhsa_kernel fft_rtc_back_len72_factors_8_3_3_wgs_384_tpt_24_half_op_CI_CI_sbcc_twdbase8_2step_dirReg
		.amdhsa_group_segment_fixed_size 0
		.amdhsa_private_segment_fixed_size 0
		.amdhsa_kernarg_size 112
		.amdhsa_user_sgpr_count 6
		.amdhsa_user_sgpr_private_segment_buffer 1
		.amdhsa_user_sgpr_dispatch_ptr 0
		.amdhsa_user_sgpr_queue_ptr 0
		.amdhsa_user_sgpr_kernarg_segment_ptr 1
		.amdhsa_user_sgpr_dispatch_id 0
		.amdhsa_user_sgpr_flat_scratch_init 0
		.amdhsa_user_sgpr_private_segment_size 0
		.amdhsa_wavefront_size32 1
		.amdhsa_uses_dynamic_stack 0
		.amdhsa_system_sgpr_private_segment_wavefront_offset 0
		.amdhsa_system_sgpr_workgroup_id_x 1
		.amdhsa_system_sgpr_workgroup_id_y 0
		.amdhsa_system_sgpr_workgroup_id_z 0
		.amdhsa_system_sgpr_workgroup_info 0
		.amdhsa_system_vgpr_workitem_id 0
		.amdhsa_next_free_vgpr 37
		.amdhsa_next_free_sgpr 55
		.amdhsa_reserve_vcc 1
		.amdhsa_reserve_flat_scratch 0
		.amdhsa_float_round_mode_32 0
		.amdhsa_float_round_mode_16_64 0
		.amdhsa_float_denorm_mode_32 3
		.amdhsa_float_denorm_mode_16_64 3
		.amdhsa_dx10_clamp 1
		.amdhsa_ieee_mode 1
		.amdhsa_fp16_overflow 0
		.amdhsa_workgroup_processor_mode 1
		.amdhsa_memory_ordered 1
		.amdhsa_forward_progress 0
		.amdhsa_shared_vgpr_count 0
		.amdhsa_exception_fp_ieee_invalid_op 0
		.amdhsa_exception_fp_denorm_src 0
		.amdhsa_exception_fp_ieee_div_zero 0
		.amdhsa_exception_fp_ieee_overflow 0
		.amdhsa_exception_fp_ieee_underflow 0
		.amdhsa_exception_fp_ieee_inexact 0
		.amdhsa_exception_int_div_zero 0
	.end_amdhsa_kernel
	.text
.Lfunc_end0:
	.size	fft_rtc_back_len72_factors_8_3_3_wgs_384_tpt_24_half_op_CI_CI_sbcc_twdbase8_2step_dirReg, .Lfunc_end0-fft_rtc_back_len72_factors_8_3_3_wgs_384_tpt_24_half_op_CI_CI_sbcc_twdbase8_2step_dirReg
                                        ; -- End function
	.section	.AMDGPU.csdata,"",@progbits
; Kernel info:
; codeLenInByte = 4120
; NumSgprs: 57
; NumVgprs: 37
; ScratchSize: 0
; MemoryBound: 0
; FloatMode: 240
; IeeeMode: 1
; LDSByteSize: 0 bytes/workgroup (compile time only)
; SGPRBlocks: 7
; VGPRBlocks: 4
; NumSGPRsForWavesPerEU: 57
; NumVGPRsForWavesPerEU: 37
; Occupancy: 15
; WaveLimiterHint : 1
; COMPUTE_PGM_RSRC2:SCRATCH_EN: 0
; COMPUTE_PGM_RSRC2:USER_SGPR: 6
; COMPUTE_PGM_RSRC2:TRAP_HANDLER: 0
; COMPUTE_PGM_RSRC2:TGID_X_EN: 1
; COMPUTE_PGM_RSRC2:TGID_Y_EN: 0
; COMPUTE_PGM_RSRC2:TGID_Z_EN: 0
; COMPUTE_PGM_RSRC2:TIDIG_COMP_CNT: 0
	.text
	.p2alignl 6, 3214868480
	.fill 48, 4, 3214868480
	.type	__hip_cuid_507025f3fe7f7ae0,@object ; @__hip_cuid_507025f3fe7f7ae0
	.section	.bss,"aw",@nobits
	.globl	__hip_cuid_507025f3fe7f7ae0
__hip_cuid_507025f3fe7f7ae0:
	.byte	0                               ; 0x0
	.size	__hip_cuid_507025f3fe7f7ae0, 1

	.ident	"AMD clang version 19.0.0git (https://github.com/RadeonOpenCompute/llvm-project roc-6.4.0 25133 c7fe45cf4b819c5991fe208aaa96edf142730f1d)"
	.section	".note.GNU-stack","",@progbits
	.addrsig
	.addrsig_sym __hip_cuid_507025f3fe7f7ae0
	.amdgpu_metadata
---
amdhsa.kernels:
  - .args:
      - .actual_access:  read_only
        .address_space:  global
        .offset:         0
        .size:           8
        .value_kind:     global_buffer
      - .address_space:  global
        .offset:         8
        .size:           8
        .value_kind:     global_buffer
      - .offset:         16
        .size:           8
        .value_kind:     by_value
      - .actual_access:  read_only
        .address_space:  global
        .offset:         24
        .size:           8
        .value_kind:     global_buffer
      - .actual_access:  read_only
        .address_space:  global
        .offset:         32
        .size:           8
        .value_kind:     global_buffer
      - .actual_access:  read_only
        .address_space:  global
        .offset:         40
        .size:           8
        .value_kind:     global_buffer
      - .offset:         48
        .size:           8
        .value_kind:     by_value
      - .actual_access:  read_only
        .address_space:  global
        .offset:         56
        .size:           8
        .value_kind:     global_buffer
      - .actual_access:  read_only
        .address_space:  global
        .offset:         64
        .size:           8
        .value_kind:     global_buffer
      - .offset:         72
        .size:           4
        .value_kind:     by_value
      - .actual_access:  read_only
        .address_space:  global
        .offset:         80
        .size:           8
        .value_kind:     global_buffer
      - .actual_access:  read_only
        .address_space:  global
        .offset:         88
        .size:           8
        .value_kind:     global_buffer
      - .actual_access:  read_only
        .address_space:  global
        .offset:         96
        .size:           8
        .value_kind:     global_buffer
      - .actual_access:  write_only
        .address_space:  global
        .offset:         104
        .size:           8
        .value_kind:     global_buffer
    .group_segment_fixed_size: 0
    .kernarg_segment_align: 8
    .kernarg_segment_size: 112
    .language:       OpenCL C
    .language_version:
      - 2
      - 0
    .max_flat_workgroup_size: 384
    .name:           fft_rtc_back_len72_factors_8_3_3_wgs_384_tpt_24_half_op_CI_CI_sbcc_twdbase8_2step_dirReg
    .private_segment_fixed_size: 0
    .sgpr_count:     57
    .sgpr_spill_count: 0
    .symbol:         fft_rtc_back_len72_factors_8_3_3_wgs_384_tpt_24_half_op_CI_CI_sbcc_twdbase8_2step_dirReg.kd
    .uniform_work_group_size: 1
    .uses_dynamic_stack: false
    .vgpr_count:     37
    .vgpr_spill_count: 0
    .wavefront_size: 32
    .workgroup_processor_mode: 1
amdhsa.target:   amdgcn-amd-amdhsa--gfx1030
amdhsa.version:
  - 1
  - 2
...

	.end_amdgpu_metadata
